;; amdgpu-corpus repo=ROCm/rocFFT kind=compiled arch=gfx950 opt=O3
	.text
	.amdgcn_target "amdgcn-amd-amdhsa--gfx950"
	.amdhsa_code_object_version 6
	.protected	fft_rtc_back_len26_factors_13_2_wgs_64_tpt_2_halfLds_sp_op_CI_CI_unitstride_sbrr_R2C_dirReg ; -- Begin function fft_rtc_back_len26_factors_13_2_wgs_64_tpt_2_halfLds_sp_op_CI_CI_unitstride_sbrr_R2C_dirReg
	.globl	fft_rtc_back_len26_factors_13_2_wgs_64_tpt_2_halfLds_sp_op_CI_CI_unitstride_sbrr_R2C_dirReg
	.p2align	8
	.type	fft_rtc_back_len26_factors_13_2_wgs_64_tpt_2_halfLds_sp_op_CI_CI_unitstride_sbrr_R2C_dirReg,@function
fft_rtc_back_len26_factors_13_2_wgs_64_tpt_2_halfLds_sp_op_CI_CI_unitstride_sbrr_R2C_dirReg: ; @fft_rtc_back_len26_factors_13_2_wgs_64_tpt_2_halfLds_sp_op_CI_CI_unitstride_sbrr_R2C_dirReg
; %bb.0:
	s_load_dwordx4 s[4:7], s[0:1], 0x58
	s_load_dwordx4 s[8:11], s[0:1], 0x0
	;; [unrolled: 1-line block ×3, first 2 shown]
	v_lshrrev_b32_e32 v1, 1, v0
	v_lshl_or_b32 v6, s2, 5, v1
	v_mov_b32_e32 v4, 0
	s_waitcnt lgkmcnt(0)
	v_cmp_lt_u64_e64 s[2:3], s[10:11], 2
	v_mov_b32_e32 v7, v4
	s_and_b64 vcc, exec, s[2:3]
	v_mov_b64_e32 v[2:3], 0
	s_cbranch_vccnz .LBB0_8
; %bb.1:
	s_load_dwordx2 s[2:3], s[0:1], 0x10
	s_add_u32 s16, s14, 8
	s_addc_u32 s17, s15, 0
	s_add_u32 s18, s12, 8
	s_addc_u32 s19, s13, 0
	s_waitcnt lgkmcnt(0)
	s_add_u32 s20, s2, 8
	v_mov_b64_e32 v[2:3], 0
	s_addc_u32 s21, s3, 0
	s_mov_b64 s[22:23], 1
	v_mov_b64_e32 v[16:17], v[2:3]
.LBB0_2:                                ; =>This Inner Loop Header: Depth=1
	s_load_dwordx2 s[24:25], s[20:21], 0x0
                                        ; implicit-def: $vgpr18_vgpr19
	s_waitcnt lgkmcnt(0)
	v_or_b32_e32 v5, s25, v7
	v_cmp_ne_u64_e32 vcc, 0, v[4:5]
	s_and_saveexec_b64 s[2:3], vcc
	s_xor_b64 s[26:27], exec, s[2:3]
	s_cbranch_execz .LBB0_4
; %bb.3:                                ;   in Loop: Header=BB0_2 Depth=1
	v_cvt_f32_u32_e32 v5, s24
	v_cvt_f32_u32_e32 v8, s25
	s_sub_u32 s2, 0, s24
	s_subb_u32 s3, 0, s25
	v_fmac_f32_e32 v5, 0x4f800000, v8
	v_rcp_f32_e32 v5, v5
	s_nop 0
	v_mul_f32_e32 v5, 0x5f7ffffc, v5
	v_mul_f32_e32 v8, 0x2f800000, v5
	v_trunc_f32_e32 v8, v8
	v_fmac_f32_e32 v5, 0xcf800000, v8
	v_cvt_u32_f32_e32 v12, v8
	v_cvt_u32_f32_e32 v5, v5
	v_mul_lo_u32 v8, s2, v12
	v_mul_hi_u32 v10, s2, v5
	v_mul_lo_u32 v9, s3, v5
	v_add_u32_e32 v10, v10, v8
	v_mul_lo_u32 v13, s2, v5
	v_add_u32_e32 v14, v10, v9
	v_mul_hi_u32 v8, v5, v13
	v_mul_hi_u32 v11, v5, v14
	v_mul_lo_u32 v10, v5, v14
	v_mov_b32_e32 v9, v4
	v_lshl_add_u64 v[8:9], v[8:9], 0, v[10:11]
	v_mul_hi_u32 v11, v12, v13
	v_mul_lo_u32 v13, v12, v13
	v_add_co_u32_e32 v8, vcc, v8, v13
	v_mul_hi_u32 v10, v12, v14
	s_nop 0
	v_addc_co_u32_e32 v8, vcc, v9, v11, vcc
	v_mov_b32_e32 v9, v4
	s_nop 0
	v_addc_co_u32_e32 v11, vcc, 0, v10, vcc
	v_mul_lo_u32 v10, v12, v14
	v_lshl_add_u64 v[8:9], v[8:9], 0, v[10:11]
	v_add_co_u32_e32 v5, vcc, v5, v8
	v_mul_lo_u32 v10, s2, v5
	s_nop 0
	v_addc_co_u32_e32 v12, vcc, v12, v9, vcc
	v_mul_lo_u32 v8, s2, v12
	v_mul_hi_u32 v9, s2, v5
	v_add_u32_e32 v8, v9, v8
	v_mul_lo_u32 v9, s3, v5
	v_add_u32_e32 v13, v8, v9
	v_mul_hi_u32 v15, v12, v10
	v_mul_lo_u32 v18, v12, v10
	v_mul_hi_u32 v9, v5, v13
	v_mul_lo_u32 v8, v5, v13
	v_mul_hi_u32 v10, v5, v10
	v_mov_b32_e32 v11, v4
	v_lshl_add_u64 v[8:9], v[10:11], 0, v[8:9]
	v_add_co_u32_e32 v8, vcc, v8, v18
	v_mul_hi_u32 v14, v12, v13
	s_nop 0
	v_addc_co_u32_e32 v8, vcc, v9, v15, vcc
	v_mul_lo_u32 v10, v12, v13
	s_nop 0
	v_addc_co_u32_e32 v11, vcc, 0, v14, vcc
	v_mov_b32_e32 v9, v4
	v_lshl_add_u64 v[8:9], v[8:9], 0, v[10:11]
	v_add_co_u32_e32 v5, vcc, v5, v8
	v_mul_hi_u32 v10, v6, v5
	s_nop 0
	v_addc_co_u32_e32 v12, vcc, v12, v9, vcc
	v_mad_u64_u32 v[8:9], s[2:3], v6, v12, 0
	v_mov_b32_e32 v11, v4
	v_lshl_add_u64 v[8:9], v[10:11], 0, v[8:9]
	v_mad_u64_u32 v[10:11], s[2:3], v7, v12, 0
	v_mad_u64_u32 v[12:13], s[2:3], v7, v5, 0
	v_add_co_u32_e32 v5, vcc, v8, v12
	s_nop 1
	v_addc_co_u32_e32 v8, vcc, v9, v13, vcc
	v_mov_b32_e32 v9, v4
	s_nop 0
	v_addc_co_u32_e32 v11, vcc, 0, v11, vcc
	v_lshl_add_u64 v[8:9], v[8:9], 0, v[10:11]
	v_mul_lo_u32 v5, s25, v8
	v_mul_lo_u32 v12, s24, v9
	v_mad_u64_u32 v[10:11], s[2:3], s24, v8, 0
	v_add3_u32 v5, v11, v12, v5
	v_sub_u32_e32 v11, v7, v5
	v_mov_b32_e32 v12, s25
	v_sub_co_u32_e32 v14, vcc, v6, v10
	s_nop 1
	v_subb_co_u32_e64 v10, s[2:3], v11, v12, vcc
	v_subrev_co_u32_e64 v11, s[2:3], s24, v14
	v_subb_co_u32_e32 v5, vcc, v7, v5, vcc
	s_nop 0
	v_subbrev_co_u32_e64 v10, s[2:3], 0, v10, s[2:3]
	v_cmp_le_u32_e64 s[2:3], s25, v10
	v_cmp_le_u32_e32 vcc, s25, v5
	s_nop 0
	v_cndmask_b32_e64 v12, 0, -1, s[2:3]
	v_cmp_le_u32_e64 s[2:3], s24, v11
	s_nop 1
	v_cndmask_b32_e64 v11, 0, -1, s[2:3]
	v_cmp_eq_u32_e64 s[2:3], s25, v10
	s_nop 1
	v_cndmask_b32_e64 v15, v12, v11, s[2:3]
	v_lshl_add_u64 v[10:11], v[8:9], 0, 2
	v_lshl_add_u64 v[12:13], v[8:9], 0, 1
	v_cmp_ne_u32_e64 s[2:3], 0, v15
	s_nop 1
	v_cndmask_b32_e64 v11, v13, v11, s[2:3]
	v_cndmask_b32_e64 v13, 0, -1, vcc
	v_cmp_le_u32_e32 vcc, s24, v14
	s_nop 1
	v_cndmask_b32_e64 v14, 0, -1, vcc
	v_cmp_eq_u32_e32 vcc, s25, v5
	s_nop 1
	v_cndmask_b32_e32 v5, v13, v14, vcc
	v_cmp_ne_u32_e32 vcc, 0, v5
	v_cndmask_b32_e64 v5, v12, v10, s[2:3]
	s_nop 0
	v_cndmask_b32_e32 v19, v9, v11, vcc
	v_cndmask_b32_e32 v18, v8, v5, vcc
.LBB0_4:                                ;   in Loop: Header=BB0_2 Depth=1
	s_andn2_saveexec_b64 s[2:3], s[26:27]
	s_cbranch_execz .LBB0_6
; %bb.5:                                ;   in Loop: Header=BB0_2 Depth=1
	v_cvt_f32_u32_e32 v5, s24
	s_sub_i32 s26, 0, s24
	v_mov_b32_e32 v19, v4
	v_rcp_iflag_f32_e32 v5, v5
	s_nop 0
	v_mul_f32_e32 v5, 0x4f7ffffe, v5
	v_cvt_u32_f32_e32 v5, v5
	v_mul_lo_u32 v8, s26, v5
	v_mul_hi_u32 v8, v5, v8
	v_add_u32_e32 v5, v5, v8
	v_mul_hi_u32 v5, v6, v5
	v_mul_lo_u32 v8, v5, s24
	v_sub_u32_e32 v8, v6, v8
	v_add_u32_e32 v9, 1, v5
	v_subrev_u32_e32 v10, s24, v8
	v_cmp_le_u32_e32 vcc, s24, v8
	s_nop 1
	v_cndmask_b32_e32 v8, v8, v10, vcc
	v_cndmask_b32_e32 v5, v5, v9, vcc
	v_add_u32_e32 v9, 1, v5
	v_cmp_le_u32_e32 vcc, s24, v8
	s_nop 1
	v_cndmask_b32_e32 v18, v5, v9, vcc
.LBB0_6:                                ;   in Loop: Header=BB0_2 Depth=1
	s_or_b64 exec, exec, s[2:3]
	v_mad_u64_u32 v[8:9], s[2:3], v18, s24, 0
	s_load_dwordx2 s[2:3], s[18:19], 0x0
	v_mul_lo_u32 v5, v19, s24
	v_mul_lo_u32 v10, v18, s25
	s_load_dwordx2 s[24:25], s[16:17], 0x0
	s_add_u32 s22, s22, 1
	v_add3_u32 v5, v9, v10, v5
	v_sub_co_u32_e32 v6, vcc, v6, v8
	s_addc_u32 s23, s23, 0
	s_nop 0
	v_subb_co_u32_e32 v5, vcc, v7, v5, vcc
	s_add_u32 s16, s16, 8
	s_waitcnt lgkmcnt(0)
	v_mul_lo_u32 v7, s2, v5
	v_mul_lo_u32 v8, s3, v6
	v_mad_u64_u32 v[2:3], s[2:3], s2, v6, v[2:3]
	s_addc_u32 s17, s17, 0
	v_add3_u32 v3, v8, v3, v7
	v_mul_lo_u32 v5, s24, v5
	v_mul_lo_u32 v7, s25, v6
	v_mad_u64_u32 v[16:17], s[2:3], s24, v6, v[16:17]
	s_add_u32 s18, s18, 8
	v_add3_u32 v17, v7, v17, v5
	s_addc_u32 s19, s19, 0
	v_mov_b64_e32 v[6:7], s[10:11]
	s_add_u32 s20, s20, 8
	v_cmp_ge_u64_e32 vcc, s[22:23], v[6:7]
	s_addc_u32 s21, s21, 0
	s_cbranch_vccnz .LBB0_9
; %bb.7:                                ;   in Loop: Header=BB0_2 Depth=1
	v_mov_b64_e32 v[6:7], v[18:19]
	s_branch .LBB0_2
.LBB0_8:
	v_mov_b64_e32 v[16:17], v[2:3]
	v_mov_b64_e32 v[18:19], v[6:7]
.LBB0_9:
	s_load_dwordx2 s[0:1], s[0:1], 0x28
	s_lshl_b64 s[10:11], s[10:11], 3
	s_add_u32 s2, s14, s10
	s_addc_u32 s3, s15, s11
	v_and_b32_e32 v20, 1, v0
	s_waitcnt lgkmcnt(0)
	v_cmp_gt_u64_e32 vcc, s[0:1], v[18:19]
	v_cmp_le_u64_e64 s[0:1], s[0:1], v[18:19]
                                        ; implicit-def: $vgpr30
                                        ; implicit-def: $vgpr28
                                        ; implicit-def: $vgpr26
                                        ; implicit-def: $vgpr24
                                        ; implicit-def: $vgpr22
	s_and_saveexec_b64 s[14:15], s[0:1]
	s_xor_b64 s[0:1], exec, s[14:15]
; %bb.10:
	v_and_b32_e32 v20, 1, v0
	v_or_b32_e32 v30, 2, v20
	v_or_b32_e32 v28, 4, v20
	;; [unrolled: 1-line block ×5, first 2 shown]
                                        ; implicit-def: $vgpr2_vgpr3
; %bb.11:
	s_or_saveexec_b64 s[0:1], s[0:1]
	v_mul_u32_u24_e32 v0, 27, v1
	v_lshlrev_b32_e32 v0, 3, v0
	s_xor_b64 exec, exec, s[0:1]
	s_cbranch_execz .LBB0_13
; %bb.12:
	s_add_u32 s10, s12, s10
	s_addc_u32 s11, s13, s11
	s_load_dwordx2 s[10:11], s[10:11], 0x0
	v_lshlrev_b32_e32 v4, 3, v20
	v_or_b32_e32 v30, 2, v20
	v_or_b32_e32 v28, 4, v20
	;; [unrolled: 1-line block ×3, first 2 shown]
	s_waitcnt lgkmcnt(0)
	v_mul_lo_u32 v1, s11, v18
	v_mul_lo_u32 v5, s10, v19
	v_mad_u64_u32 v[6:7], s[10:11], s10, v18, 0
	v_add3_u32 v7, v7, v5, v1
	v_lshl_add_u64 v[6:7], v[6:7], 3, s[4:5]
	v_lshl_add_u64 v[2:3], v[2:3], 3, v[6:7]
	v_mov_b32_e32 v5, 0
	v_lshl_add_u64 v[2:3], v[2:3], 0, v[4:5]
	global_load_dwordx2 v[6:7], v[2:3], off
	global_load_dwordx2 v[8:9], v[2:3], off offset:16
	global_load_dwordx2 v[10:11], v[2:3], off offset:32
	;; [unrolled: 1-line block ×12, first 2 shown]
	v_or_b32_e32 v24, 8, v20
	v_or_b32_e32 v22, 10, v20
	v_add3_u32 v1, 0, v0, v4
	s_waitcnt vmcnt(11)
	ds_write2_b64 v1, v[6:7], v[8:9] offset1:2
	s_waitcnt vmcnt(9)
	ds_write2_b64 v1, v[10:11], v[12:13] offset0:4 offset1:6
	s_waitcnt vmcnt(7)
	ds_write2_b64 v1, v[14:15], v[32:33] offset0:8 offset1:10
	;; [unrolled: 2-line block ×5, first 2 shown]
	s_waitcnt vmcnt(0)
	ds_write_b64 v1, v[46:47] offset:192
.LBB0_13:
	s_or_b64 exec, exec, s[0:1]
	v_add_u32_e32 v102, 0, v0
	v_lshlrev_b32_e32 v104, 3, v20
	v_add_u32_e32 v103, v102, v104
	s_load_dwordx2 s[4:5], s[2:3], 0x0
	s_waitcnt lgkmcnt(0)
	; wave barrier
	s_waitcnt lgkmcnt(0)
	v_add3_u32 v105, 0, v104, v0
	ds_read_b64 v[2:3], v103
	ds_read2_b64 v[4:7], v105 offset0:2 offset1:4
	ds_read2_b64 v[38:41], v105 offset0:6 offset1:8
	ds_read2_b64 v[50:53], v105 offset0:22 offset1:24
	ds_read2_b64 v[54:57], v105 offset0:10 offset1:12
	ds_read2_b64 v[58:61], v105 offset0:14 offset1:16
	ds_read2_b64 v[62:65], v105 offset0:18 offset1:20
	s_waitcnt lgkmcnt(5)
	v_pk_add_f32 v[0:1], v[2:3], v[4:5]
	s_mov_b32 s26, 0xbeedf032
	v_pk_add_f32 v[0:1], v[0:1], v[6:7]
	s_waitcnt lgkmcnt(3)
	v_pk_add_f32 v[8:9], v[52:53], v[4:5]
	v_pk_add_f32 v[0:1], v[0:1], v[38:39]
	v_pk_add_f32 v[10:11], v[4:5], v[52:53] neg_lo:[0,1] neg_hi:[0,1]
	v_pk_add_f32 v[0:1], v[0:1], v[40:41]
	s_mov_b32 s12, 0xbf52af12
	s_waitcnt lgkmcnt(2)
	v_pk_add_f32 v[0:1], v[0:1], v[54:55]
	s_mov_b32 s27, 0x3f62ad3f
	v_pk_add_f32 v[0:1], v[0:1], v[56:57]
	s_mov_b32 s0, 0x3f116cb1
	s_waitcnt lgkmcnt(1)
	v_pk_add_f32 v[0:1], v[0:1], v[58:59]
	v_pk_mul_f32 v[4:5], v[10:11], s[12:13] op_sel_hi:[1,0]
	v_pk_add_f32 v[0:1], v[0:1], v[60:61]
	v_pk_add_f32 v[12:13], v[50:51], v[6:7]
	s_waitcnt lgkmcnt(0)
	v_pk_add_f32 v[0:1], v[0:1], v[62:63]
	v_pk_add_f32 v[14:15], v[6:7], v[50:51] neg_lo:[0,1] neg_hi:[0,1]
	v_pk_add_f32 v[0:1], v[0:1], v[64:65]
	s_mov_b32 s14, s27
	v_pk_add_f32 v[0:1], v[0:1], v[50:51]
	s_mov_b32 s15, s26
	v_pk_add_f32 v[74:75], v[0:1], v[52:53]
	v_mov_b32_e32 v0, v8
	v_mov_b32_e32 v1, v10
	v_pk_add_f32 v[42:43], v[60:61], v[54:55]
	v_pk_add_f32 v[46:47], v[54:55], v[60:61] neg_lo:[0,1] neg_hi:[0,1]
	v_pk_fma_f32 v[6:7], v[8:9], s[0:1], v[4:5] op_sel:[0,0,1] op_sel_hi:[1,0,0]
	v_pk_fma_f32 v[4:5], v[8:9], s[0:1], v[4:5] op_sel:[0,0,1] op_sel_hi:[1,0,0] neg_lo:[0,0,1] neg_hi:[0,0,1]
	v_mov_b32_e32 v44, v11
	v_mov_b32_e32 v45, v9
	v_pk_mul_f32 v[50:51], v[0:1], s[14:15]
	v_mov_b32_e32 v54, v12
	v_mov_b32_e32 v55, v14
	s_mov_b32 s1, s12
	v_pk_add_f32 v[32:33], v[64:65], v[38:39]
	v_pk_add_f32 v[34:35], v[38:39], v[64:65] neg_lo:[0,1] neg_hi:[0,1]
	v_pk_add_f32 v[36:37], v[62:63], v[40:41]
	v_pk_add_f32 v[48:49], v[40:41], v[62:63] neg_lo:[0,1] neg_hi:[0,1]
	;; [unrolled: 2-line block ×3, first 2 shown]
	s_mov_b32 s10, 0x3f7e222b
	v_pk_fma_f32 v[0:1], v[44:45], s[26:27], v[50:51] neg_lo:[1,0,0] neg_hi:[1,0,0]
	v_pk_fma_f32 v[52:53], v[44:45], s[26:27], v[50:51]
	v_mov_b32_e32 v56, v15
	v_mov_b32_e32 v57, v13
	s_mov_b32 s13, s0
	v_pk_mul_f32 v[58:59], v[54:55], s[0:1]
	v_pk_fma_f32 v[44:45], v[44:45], s[26:27], v[50:51] neg_lo:[0,0,1] neg_hi:[0,0,1]
	s_mov_b32 s2, 0x3df6dbef
	v_mov_b32_e32 v1, v53
	v_pk_fma_f32 v[54:55], v[56:57], s[12:13], v[58:59] neg_lo:[1,0,0] neg_hi:[1,0,0]
	v_mov_b32_e32 v53, v45
	v_pk_fma_f32 v[60:61], v[56:57], s[12:13], v[58:59]
	v_pk_fma_f32 v[44:45], v[56:57], s[12:13], v[58:59] neg_lo:[0,0,1] neg_hi:[0,0,1]
	v_pk_mul_f32 v[56:57], v[46:47], s[10:11] op_sel_hi:[1,0]
	s_mov_b32 s28, 0xbf7e222b
	v_mov_b32_e32 v55, v61
	v_mov_b32_e32 v61, v45
	v_pk_fma_f32 v[50:51], v[42:43], s[2:3], v[56:57] op_sel:[0,0,1] op_sel_hi:[1,0,0]
	v_pk_fma_f32 v[44:45], v[42:43], s[2:3], v[56:57] op_sel:[0,0,1] op_sel_hi:[1,0,0] neg_lo:[0,0,1] neg_hi:[0,0,1]
	v_mov_b32_e32 v58, v32
	v_mov_b32_e32 v59, v34
	s_mov_b32 s3, s28
	v_pk_add_f32 v[52:53], v[2:3], v[52:53]
	v_mov_b32_e32 v56, v35
	v_mov_b32_e32 v57, v33
	s_mov_b32 s29, s2
	v_pk_mul_f32 v[58:59], v[58:59], s[2:3]
	v_pk_add_f32 v[52:53], v[60:61], v[52:53]
	v_pk_fma_f32 v[62:63], v[56:57], s[28:29], v[58:59] neg_lo:[1,0,0] neg_hi:[1,0,0]
	v_pk_fma_f32 v[60:61], v[56:57], s[28:29], v[58:59]
	v_pk_fma_f32 v[56:57], v[56:57], s[28:29], v[58:59] neg_lo:[0,0,1] neg_hi:[0,0,1]
	v_mov_b32_e32 v63, v61
	v_mov_b32_e32 v61, v57
	s_mov_b32 s16, 0xbf6f5d39
	v_pk_add_f32 v[58:59], v[60:61], v[52:53]
	s_mov_b32 s14, 0xbeb58ec6
	v_pk_mul_f32 v[52:53], v[14:15], s[16:17] op_sel_hi:[1,0]
	v_mov_b32_e32 v64, v36
	v_pk_fma_f32 v[56:57], v[12:13], s[14:15], v[52:53] op_sel:[0,0,1] op_sel_hi:[1,0,0]
	v_pk_fma_f32 v[52:53], v[12:13], s[14:15], v[52:53] op_sel:[0,0,1] op_sel_hi:[1,0,0] neg_lo:[0,0,1] neg_hi:[0,0,1]
	v_mov_b32_e32 v65, v48
	s_mov_b32 s15, s16
	v_mov_b32_e32 v60, v49
	v_mov_b32_e32 v61, v37
	s_mov_b32 s17, s14
	v_pk_mul_f32 v[64:65], v[64:65], s[14:15]
	s_mov_b32 s34, 0x3f29c268
	v_pk_fma_f32 v[66:67], v[60:61], s[16:17], v[64:65] neg_lo:[1,0,0] neg_hi:[1,0,0]
	v_pk_fma_f32 v[68:69], v[60:61], s[16:17], v[64:65]
	v_pk_fma_f32 v[60:61], v[60:61], s[16:17], v[64:65] neg_lo:[0,0,1] neg_hi:[0,0,1]
	v_mov_b32_e32 v67, v69
	v_mov_b32_e32 v69, v61
	v_pk_add_f32 v[64:65], v[68:69], v[58:59]
	s_mov_b32 s18, 0xbf3f9e67
	v_pk_mul_f32 v[58:59], v[48:49], s[34:35] op_sel_hi:[1,0]
	s_mov_b32 s20, 0xbf29c268
	v_pk_fma_f32 v[60:61], v[36:37], s[18:19], v[58:59] op_sel:[0,0,1] op_sel_hi:[1,0,0]
	v_pk_fma_f32 v[58:59], v[36:37], s[18:19], v[58:59] op_sel:[0,0,1] op_sel_hi:[1,0,0] neg_lo:[0,0,1] neg_hi:[0,0,1]
	v_mov_b32_e32 v70, v42
	v_mov_b32_e32 v71, v46
	s_mov_b32 s19, s20
	v_mov_b32_e32 v68, v47
	v_mov_b32_e32 v69, v43
	s_mov_b32 s21, s18
	v_pk_mul_f32 v[72:73], v[70:71], s[18:19]
	s_mov_b32 s24, 0xbe750f2a
	v_pk_fma_f32 v[70:71], v[68:69], s[20:21], v[72:73] neg_lo:[1,0,0] neg_hi:[1,0,0]
	v_pk_fma_f32 v[76:77], v[68:69], s[20:21], v[72:73]
	v_pk_fma_f32 v[68:69], v[68:69], s[20:21], v[72:73] neg_lo:[0,0,1] neg_hi:[0,0,1]
	v_mov_b32_e32 v71, v77
	v_mov_b32_e32 v77, v69
	v_pk_add_f32 v[76:77], v[76:77], v[64:65]
	s_mov_b32 s22, 0xbf788fa5
	v_pk_mul_f32 v[64:65], v[34:35], s[24:25] op_sel_hi:[1,0]
	v_mov_b32_e32 v72, v38
	v_pk_fma_f32 v[68:69], v[32:33], s[22:23], v[64:65] op_sel:[0,0,1] op_sel_hi:[1,0,0]
	v_pk_fma_f32 v[64:65], v[32:33], s[22:23], v[64:65] op_sel:[0,0,1] op_sel_hi:[1,0,0] neg_lo:[0,0,1] neg_hi:[0,0,1]
	v_mov_b32_e32 v73, v40
	s_mov_b32 s23, s24
	v_mov_b32_e32 v78, v41
	v_mov_b32_e32 v79, v39
	s_mov_b32 s25, s22
	v_pk_mul_f32 v[80:81], v[72:73], s[22:23]
	s_movk_i32 s1, 0x60
	v_pk_fma_f32 v[72:73], v[78:79], s[24:25], v[80:81] neg_lo:[1,0,0] neg_hi:[1,0,0]
	v_pk_fma_f32 v[82:83], v[78:79], s[24:25], v[80:81]
	v_pk_fma_f32 v[78:79], v[78:79], s[24:25], v[80:81] neg_lo:[0,0,1] neg_hi:[0,0,1]
	v_mov_b32_e32 v73, v83
	v_mov_b32_e32 v83, v79
	v_pk_add_f32 v[76:77], v[82:83], v[76:77]
	v_mad_u32_u24 v21, v20, s1, v105
	s_waitcnt lgkmcnt(0)
	; wave barrier
	ds_write2_b64 v21, v[74:75], v[76:77] offset1:1
	v_mov_b32_e32 v74, v6
	v_mov_b32_e32 v75, v5
	v_mov_b32_e32 v76, v56
	v_mov_b32_e32 v77, v53
	v_pk_add_f32 v[74:75], v[2:3], v[74:75]
	s_mov_b32 s30, 0x3eedf032
	v_pk_add_f32 v[74:75], v[76:77], v[74:75]
	v_mov_b32_e32 v76, v68
	v_mov_b32_e32 v77, v65
	v_pk_add_f32 v[74:75], v[76:77], v[74:75]
	v_mov_b32_e32 v76, v60
	v_mov_b32_e32 v77, v59
	;; [unrolled: 3-line block ×3, first 2 shown]
	v_pk_add_f32 v[78:79], v[76:77], v[74:75]
	s_mov_b32 s26, s27
	v_pk_mul_f32 v[76:77], v[40:41], s[30:31] op_sel_hi:[1,0]
	s_mov_b32 s36, 0x3f6f5d39
	v_pk_fma_f32 v[74:75], v[38:39], s[26:27], v[76:77] op_sel:[0,0,1] op_sel_hi:[1,0,0]
	v_pk_fma_f32 v[76:77], v[38:39], s[26:27], v[76:77] op_sel:[0,0,1] op_sel_hi:[1,0,0] neg_lo:[0,0,1] neg_hi:[0,0,1]
	v_mov_b32_e32 v80, v74
	v_mov_b32_e32 v81, v77
	v_pk_add_f32 v[106:107], v[80:81], v[78:79]
	v_pk_mul_f32 v[78:79], v[10:11], s[28:29] op_sel_hi:[1,0]
	v_pk_mul_f32 v[80:81], v[14:15], s[24:25] op_sel_hi:[1,0]
	v_pk_fma_f32 v[82:83], v[8:9], s[2:3], v[78:79] op_sel:[0,0,1] op_sel_hi:[1,0,0]
	v_pk_fma_f32 v[78:79], v[8:9], s[2:3], v[78:79] op_sel:[0,0,1] op_sel_hi:[1,0,0] neg_lo:[0,0,1] neg_hi:[0,0,1]
	v_mov_b32_e32 v86, v82
	v_mov_b32_e32 v87, v79
	v_pk_fma_f32 v[84:85], v[12:13], s[22:23], v[80:81] op_sel:[0,0,1] op_sel_hi:[1,0,0]
	v_pk_fma_f32 v[80:81], v[12:13], s[22:23], v[80:81] op_sel:[0,0,1] op_sel_hi:[1,0,0] neg_lo:[0,0,1] neg_hi:[0,0,1]
	v_mov_b32_e32 v88, v84
	v_mov_b32_e32 v89, v81
	v_pk_add_f32 v[86:87], v[2:3], v[86:87]
	v_pk_mul_f32 v[112:113], v[14:15], s[34:35] op_sel_hi:[1,0]
	v_pk_add_f32 v[88:89], v[88:89], v[86:87]
	v_pk_mul_f32 v[86:87], v[34:35], s[36:37] op_sel_hi:[1,0]
	v_pk_fma_f32 v[114:115], v[12:13], s[18:19], v[112:113] op_sel:[0,0,1] op_sel_hi:[1,0,0]
	v_pk_fma_f32 v[90:91], v[32:33], s[14:15], v[86:87] op_sel:[0,0,1] op_sel_hi:[1,0,0]
	v_pk_fma_f32 v[86:87], v[32:33], s[14:15], v[86:87] op_sel:[0,0,1] op_sel_hi:[1,0,0] neg_lo:[0,0,1] neg_hi:[0,0,1]
	v_mov_b32_e32 v92, v90
	v_mov_b32_e32 v93, v87
	v_pk_add_f32 v[92:93], v[92:93], v[88:89]
	v_pk_mul_f32 v[88:89], v[48:49], s[30:31] op_sel_hi:[1,0]
	v_pk_fma_f32 v[112:113], v[12:13], s[18:19], v[112:113] op_sel:[0,0,1] op_sel_hi:[1,0,0] neg_lo:[0,0,1] neg_hi:[0,0,1]
	v_pk_fma_f32 v[94:95], v[36:37], s[26:27], v[88:89] op_sel:[0,0,1] op_sel_hi:[1,0,0]
	v_pk_fma_f32 v[88:89], v[36:37], s[26:27], v[88:89] op_sel:[0,0,1] op_sel_hi:[1,0,0] neg_lo:[0,0,1] neg_hi:[0,0,1]
	v_mov_b32_e32 v96, v94
	v_mov_b32_e32 v97, v89
	v_pk_add_f32 v[96:97], v[96:97], v[92:93]
	v_pk_mul_f32 v[92:93], v[46:47], s[12:13] op_sel_hi:[1,0]
	v_mov_b32_e32 v116, v114
	v_pk_fma_f32 v[100:101], v[42:43], s[0:1], v[92:93] op_sel:[0,0,1] op_sel_hi:[1,0,0]
	v_pk_fma_f32 v[92:93], v[42:43], s[0:1], v[92:93] op_sel:[0,0,1] op_sel_hi:[1,0,0] neg_lo:[0,0,1] neg_hi:[0,0,1]
	v_mov_b32_e32 v98, v100
	v_mov_b32_e32 v99, v93
	v_pk_add_f32 v[108:109], v[98:99], v[96:97]
	v_pk_mul_f32 v[98:99], v[40:41], s[20:21] op_sel_hi:[1,0]
	v_mov_b32_e32 v117, v113
	v_pk_fma_f32 v[96:97], v[38:39], s[18:19], v[98:99] op_sel:[0,0,1] op_sel_hi:[1,0,0]
	v_pk_fma_f32 v[98:99], v[38:39], s[18:19], v[98:99] op_sel:[0,0,1] op_sel_hi:[1,0,0] neg_lo:[0,0,1] neg_hi:[0,0,1]
	v_mov_b32_e32 v110, v96
	v_mov_b32_e32 v111, v99
	v_pk_add_f32 v[108:109], v[110:111], v[108:109]
	ds_write2_b64 v21, v[106:107], v[108:109] offset0:2 offset1:3
	v_pk_mul_f32 v[106:107], v[10:11], s[16:17] op_sel_hi:[1,0]
	s_mov_b32 s34, 0x3f52af12
	v_pk_fma_f32 v[108:109], v[8:9], s[14:15], v[106:107] op_sel:[0,0,1] op_sel_hi:[1,0,0]
	v_pk_fma_f32 v[106:107], v[8:9], s[14:15], v[106:107] op_sel:[0,0,1] op_sel_hi:[1,0,0] neg_lo:[0,0,1] neg_hi:[0,0,1]
	v_mov_b32_e32 v110, v108
	v_mov_b32_e32 v111, v107
	v_pk_add_f32 v[110:111], v[2:3], v[110:111]
	v_pk_mul_f32 v[138:139], v[14:15], s[10:11] op_sel_hi:[1,0]
	v_pk_add_f32 v[110:111], v[116:117], v[110:111]
	v_pk_mul_f32 v[116:117], v[34:35], s[30:31] op_sel_hi:[1,0]
	v_pk_fma_f32 v[140:141], v[12:13], s[2:3], v[138:139] op_sel:[0,0,1] op_sel_hi:[1,0,0]
	v_pk_fma_f32 v[118:119], v[32:33], s[26:27], v[116:117] op_sel:[0,0,1] op_sel_hi:[1,0,0]
	v_pk_fma_f32 v[116:117], v[32:33], s[26:27], v[116:117] op_sel:[0,0,1] op_sel_hi:[1,0,0] neg_lo:[0,0,1] neg_hi:[0,0,1]
	v_mov_b32_e32 v120, v118
	v_mov_b32_e32 v121, v117
	v_pk_add_f32 v[110:111], v[120:121], v[110:111]
	v_pk_mul_f32 v[120:121], v[48:49], s[28:29] op_sel_hi:[1,0]
	s_mov_b32 s28, 0x3e750f2a
	v_pk_fma_f32 v[122:123], v[36:37], s[2:3], v[120:121] op_sel:[0,0,1] op_sel_hi:[1,0,0]
	v_pk_fma_f32 v[120:121], v[36:37], s[2:3], v[120:121] op_sel:[0,0,1] op_sel_hi:[1,0,0] neg_lo:[0,0,1] neg_hi:[0,0,1]
	v_mov_b32_e32 v124, v122
	v_mov_b32_e32 v125, v121
	v_pk_add_f32 v[110:111], v[124:125], v[110:111]
	v_pk_mul_f32 v[124:125], v[46:47], s[28:29] op_sel_hi:[1,0]
	v_pk_fma_f32 v[138:139], v[12:13], s[2:3], v[138:139] op_sel:[0,0,1] op_sel_hi:[1,0,0] neg_lo:[0,0,1] neg_hi:[0,0,1]
	v_pk_fma_f32 v[126:127], v[42:43], s[22:23], v[124:125] op_sel:[0,0,1] op_sel_hi:[1,0,0]
	v_pk_fma_f32 v[124:125], v[42:43], s[22:23], v[124:125] op_sel:[0,0,1] op_sel_hi:[1,0,0] neg_lo:[0,0,1] neg_hi:[0,0,1]
	v_mov_b32_e32 v128, v126
	v_mov_b32_e32 v129, v125
	v_pk_add_f32 v[110:111], v[128:129], v[110:111]
	v_pk_mul_f32 v[128:129], v[40:41], s[34:35] op_sel_hi:[1,0]
	v_mov_b32_e32 v142, v140
	v_pk_fma_f32 v[130:131], v[38:39], s[0:1], v[128:129] op_sel:[0,0,1] op_sel_hi:[1,0,0]
	v_pk_fma_f32 v[128:129], v[38:39], s[0:1], v[128:129] op_sel:[0,0,1] op_sel_hi:[1,0,0] neg_lo:[0,0,1] neg_hi:[0,0,1]
	v_mov_b32_e32 v132, v130
	v_mov_b32_e32 v133, v129
	v_pk_add_f32 v[110:111], v[132:133], v[110:111]
	v_pk_mul_f32 v[132:133], v[10:11], s[20:21] op_sel_hi:[1,0]
	v_mov_b32_e32 v143, v139
	v_pk_fma_f32 v[134:135], v[8:9], s[18:19], v[132:133] op_sel:[0,0,1] op_sel_hi:[1,0,0]
	v_pk_fma_f32 v[132:133], v[8:9], s[18:19], v[132:133] op_sel:[0,0,1] op_sel_hi:[1,0,0] neg_lo:[0,0,1] neg_hi:[0,0,1]
	v_mov_b32_e32 v136, v134
	v_mov_b32_e32 v137, v133
	v_pk_add_f32 v[136:137], v[2:3], v[136:137]
	v_pk_mul_f32 v[10:11], v[10:11], s[24:25] op_sel_hi:[1,0]
	v_pk_add_f32 v[136:137], v[142:143], v[136:137]
	v_pk_mul_f32 v[142:143], v[34:35], s[12:13] op_sel_hi:[1,0]
	v_mov_b32_e32 v133, v135
	v_pk_fma_f32 v[144:145], v[32:33], s[0:1], v[142:143] op_sel:[0,0,1] op_sel_hi:[1,0,0]
	v_pk_fma_f32 v[142:143], v[32:33], s[0:1], v[142:143] op_sel:[0,0,1] op_sel_hi:[1,0,0] neg_lo:[0,0,1] neg_hi:[0,0,1]
	v_mov_b32_e32 v146, v144
	v_mov_b32_e32 v147, v143
	v_pk_add_f32 v[136:137], v[146:147], v[136:137]
	v_pk_mul_f32 v[146:147], v[48:49], s[28:29] op_sel_hi:[1,0]
	v_mov_b32_e32 v107, v109
	v_pk_fma_f32 v[148:149], v[36:37], s[22:23], v[146:147] op_sel:[0,0,1] op_sel_hi:[1,0,0]
	v_pk_fma_f32 v[146:147], v[36:37], s[22:23], v[146:147] op_sel:[0,0,1] op_sel_hi:[1,0,0] neg_lo:[0,0,1] neg_hi:[0,0,1]
	v_mov_b32_e32 v150, v148
	v_mov_b32_e32 v151, v147
	;; [unrolled: 7-line block ×3, first 2 shown]
	v_pk_add_f32 v[136:137], v[154:155], v[136:137]
	v_pk_mul_f32 v[154:155], v[40:41], s[16:17] op_sel_hi:[1,0]
	v_pk_mul_f32 v[40:41], v[40:41], s[10:11] op_sel_hi:[1,0]
	v_pk_fma_f32 v[156:157], v[38:39], s[14:15], v[154:155] op_sel:[0,0,1] op_sel_hi:[1,0,0]
	v_pk_fma_f32 v[154:155], v[38:39], s[14:15], v[154:155] op_sel:[0,0,1] op_sel_hi:[1,0,0] neg_lo:[0,0,1] neg_hi:[0,0,1]
	v_mov_b32_e32 v158, v156
	v_mov_b32_e32 v159, v155
	v_pk_add_f32 v[136:137], v[158:159], v[136:137]
	ds_write2_b64 v21, v[110:111], v[136:137] offset0:4 offset1:5
	v_pk_fma_f32 v[110:111], v[8:9], s[22:23], v[10:11] op_sel:[0,0,1] op_sel_hi:[1,0,0]
	v_pk_fma_f32 v[8:9], v[8:9], s[22:23], v[10:11] op_sel:[0,0,1] op_sel_hi:[1,0,0] neg_lo:[0,0,1] neg_hi:[0,0,1]
	v_pk_mul_f32 v[10:11], v[14:15], s[30:31] op_sel_hi:[1,0]
	v_mov_b32_e32 v113, v115
	v_pk_fma_f32 v[14:15], v[12:13], s[26:27], v[10:11] op_sel:[0,0,1] op_sel_hi:[1,0,0]
	v_pk_fma_f32 v[10:11], v[12:13], s[26:27], v[10:11] op_sel:[0,0,1] op_sel_hi:[1,0,0] neg_lo:[0,0,1] neg_hi:[0,0,1]
	v_pk_mul_f32 v[12:13], v[34:35], s[20:21] op_sel_hi:[1,0]
	v_mov_b32_e32 v136, v14
	v_pk_fma_f32 v[34:35], v[32:33], s[18:19], v[12:13] op_sel:[0,0,1] op_sel_hi:[1,0,0]
	v_pk_fma_f32 v[12:13], v[32:33], s[18:19], v[12:13] op_sel:[0,0,1] op_sel_hi:[1,0,0] neg_lo:[0,0,1] neg_hi:[0,0,1]
	v_pk_mul_f32 v[32:33], v[48:49], s[34:35] op_sel_hi:[1,0]
	v_mov_b32_e32 v137, v11
	v_pk_fma_f32 v[48:49], v[36:37], s[0:1], v[32:33] op_sel:[0,0,1] op_sel_hi:[1,0,0]
	v_pk_fma_f32 v[32:33], v[36:37], s[0:1], v[32:33] op_sel:[0,0,1] op_sel_hi:[1,0,0] neg_lo:[0,0,1] neg_hi:[0,0,1]
	v_pk_mul_f32 v[36:37], v[46:47], s[16:17] op_sel_hi:[1,0]
	v_mov_b32_e32 v11, v15
	v_pk_fma_f32 v[46:47], v[42:43], s[14:15], v[36:37] op_sel:[0,0,1] op_sel_hi:[1,0,0]
	v_pk_fma_f32 v[36:37], v[42:43], s[14:15], v[36:37] op_sel:[0,0,1] op_sel_hi:[1,0,0] neg_lo:[0,0,1] neg_hi:[0,0,1]
	v_mov_b32_e32 v42, v110
	v_mov_b32_e32 v43, v9
	v_pk_add_f32 v[42:43], v[2:3], v[42:43]
	v_mov_b32_e32 v9, v111
	v_pk_add_f32 v[42:43], v[136:137], v[42:43]
	v_mov_b32_e32 v136, v34
	v_mov_b32_e32 v137, v13
	v_pk_add_f32 v[8:9], v[2:3], v[8:9]
	v_pk_add_f32 v[42:43], v[136:137], v[42:43]
	v_mov_b32_e32 v136, v48
	v_mov_b32_e32 v137, v33
	v_mov_b32_e32 v13, v35
	v_pk_add_f32 v[8:9], v[10:11], v[8:9]
	v_pk_add_f32 v[42:43], v[136:137], v[42:43]
	v_mov_b32_e32 v136, v46
	v_mov_b32_e32 v137, v37
	;; [unrolled: 1-line block ×3, first 2 shown]
	v_pk_add_f32 v[8:9], v[12:13], v[8:9]
	v_pk_add_f32 v[42:43], v[136:137], v[42:43]
	v_pk_fma_f32 v[136:137], v[38:39], s[2:3], v[40:41] op_sel:[0,0,1] op_sel_hi:[1,0,0]
	v_pk_fma_f32 v[38:39], v[38:39], s[2:3], v[40:41] op_sel:[0,0,1] op_sel_hi:[1,0,0] neg_lo:[0,0,1] neg_hi:[0,0,1]
	v_mov_b32_e32 v37, v47
	v_pk_add_f32 v[8:9], v[32:33], v[8:9]
	v_mov_b32_e32 v40, v136
	v_mov_b32_e32 v41, v39
	v_pk_add_f32 v[8:9], v[36:37], v[8:9]
	v_mov_b32_e32 v39, v137
	v_pk_add_f32 v[40:41], v[40:41], v[42:43]
	v_pk_add_f32 v[8:9], v[38:39], v[8:9]
	ds_write2_b64 v21, v[40:41], v[8:9] offset0:6 offset1:7
	v_pk_add_f32 v[8:9], v[2:3], v[132:133]
	v_pk_add_f32 v[10:11], v[2:3], v[106:107]
	v_mov_b32_e32 v143, v145
	v_pk_add_f32 v[8:9], v[138:139], v[8:9]
	v_mov_b32_e32 v117, v119
	;; [unrolled: 2-line block ×6, first 2 shown]
	v_pk_add_f32 v[10:11], v[120:121], v[10:11]
	v_pk_add_f32 v[8:9], v[150:151], v[8:9]
	v_mov_b32_e32 v155, v157
	v_pk_add_f32 v[10:11], v[124:125], v[10:11]
	v_mov_b32_e32 v129, v131
	v_pk_add_f32 v[8:9], v[154:155], v[8:9]
	v_pk_add_f32 v[10:11], v[128:129], v[10:11]
	v_mov_b32_e32 v79, v83
	v_mov_b32_e32 v5, v7
	ds_write2_b64 v21, v[8:9], v[10:11] offset0:8 offset1:9
	v_pk_add_f32 v[0:1], v[2:3], v[0:1]
	v_mov_b32_e32 v81, v85
	v_pk_add_f32 v[8:9], v[2:3], v[78:79]
	v_mov_b32_e32 v53, v57
	v_pk_add_f32 v[2:3], v[2:3], v[4:5]
	v_mov_b32_e32 v87, v91
	v_pk_add_f32 v[8:9], v[80:81], v[8:9]
	v_mov_b32_e32 v65, v69
	v_pk_add_f32 v[2:3], v[52:53], v[2:3]
	v_pk_add_f32 v[0:1], v[54:55], v[0:1]
	v_mov_b32_e32 v89, v95
	v_pk_add_f32 v[8:9], v[86:87], v[8:9]
	v_mov_b32_e32 v59, v61
	v_pk_add_f32 v[2:3], v[64:65], v[2:3]
	v_pk_add_f32 v[0:1], v[62:63], v[0:1]
	v_mov_b32_e32 v93, v101
	v_pk_add_f32 v[8:9], v[88:89], v[8:9]
	v_mov_b32_e32 v45, v51
	v_pk_add_f32 v[2:3], v[58:59], v[2:3]
	v_pk_add_f32 v[0:1], v[66:67], v[0:1]
	;; [unrolled: 1-line block ×3, first 2 shown]
	v_mov_b32_e32 v99, v97
	v_pk_add_f32 v[2:3], v[44:45], v[2:3]
	v_mov_b32_e32 v77, v75
	v_pk_add_f32 v[0:1], v[70:71], v[0:1]
	v_pk_add_f32 v[8:9], v[98:99], v[8:9]
	;; [unrolled: 1-line block ×4, first 2 shown]
	ds_write2_b64 v21, v[8:9], v[2:3] offset0:10 offset1:11
	ds_write_b64 v21, v[0:1] offset:96
	s_waitcnt lgkmcnt(0)
	; wave barrier
	s_waitcnt lgkmcnt(0)
	ds_read2_b64 v[4:7], v105 offset0:13 offset1:15
	ds_read2_b64 v[8:11], v105 offset0:17 offset1:19
	v_lshl_add_u32 v52, v30, 3, v102
	v_lshl_add_u32 v51, v28, 3, v102
	;; [unrolled: 1-line block ×3, first 2 shown]
	ds_read_b64 v[32:33], v103
	ds_read_b64 v[36:37], v52
	;; [unrolled: 1-line block ×4, first 2 shown]
	v_lshl_add_u32 v49, v24, 3, v102
	ds_read2_b64 v[12:15], v105 offset0:21 offset1:23
	v_lshl_add_u32 v48, v22, 3, v102
	ds_read_b64 v[44:45], v49
	ds_read_b64 v[46:47], v48
	v_cmp_ne_u32_e64 s[2:3], 0, v20
	v_cmp_eq_u32_e64 s[0:1], 0, v20
	v_mov_b64_e32 v[42:43], 0
	s_and_saveexec_b64 s[10:11], s[0:1]
	s_cbranch_execz .LBB0_15
; %bb.14:
	ds_read2_b64 v[0:3], v102 offset0:12 offset1:25
	v_mov_b64_e32 v[42:43], 12
.LBB0_15:
	s_or_b64 exec, exec, s[10:11]
	v_mov_b32_e32 v21, 0
	v_mov_b32_e32 v23, v21
	;; [unrolled: 1-line block ×6, first 2 shown]
	v_lshl_add_u64 v[22:23], v[22:23], 3, s[8:9]
	v_lshl_add_u64 v[34:35], v[20:21], 3, s[8:9]
	;; [unrolled: 1-line block ×6, first 2 shown]
	global_load_dwordx2 v[54:55], v[22:23], off
	global_load_dwordx2 v[56:57], v[24:25], off
	;; [unrolled: 1-line block ×6, first 2 shown]
	s_waitcnt lgkmcnt(0)
	; wave barrier
	s_waitcnt vmcnt(5) lgkmcnt(0)
	v_pk_mul_f32 v[66:67], v[54:55], v[14:15] op_sel:[0,1]
	s_waitcnt vmcnt(4)
	v_pk_mul_f32 v[68:69], v[56:57], v[12:13] op_sel:[0,1]
	s_waitcnt vmcnt(3)
	;; [unrolled: 2-line block ×5, first 2 shown]
	v_pk_mul_f32 v[76:77], v[64:65], v[4:5] op_sel:[0,1]
	v_pk_fma_f32 v[78:79], v[54:55], v[14:15], v[66:67] op_sel:[0,0,1] op_sel_hi:[1,1,0]
	v_pk_fma_f32 v[14:15], v[54:55], v[14:15], v[66:67] op_sel:[0,0,1] op_sel_hi:[1,0,0] neg_lo:[1,0,0] neg_hi:[1,0,0]
	v_pk_fma_f32 v[54:55], v[56:57], v[12:13], v[68:69] op_sel:[0,0,1] op_sel_hi:[1,1,0]
	v_pk_fma_f32 v[12:13], v[56:57], v[12:13], v[68:69] op_sel:[0,0,1] op_sel_hi:[1,0,0] neg_lo:[1,0,0] neg_hi:[1,0,0]
	v_pk_fma_f32 v[56:57], v[58:59], v[10:11], v[70:71] op_sel:[0,0,1] op_sel_hi:[1,1,0]
	v_pk_fma_f32 v[10:11], v[58:59], v[10:11], v[70:71] op_sel:[0,0,1] op_sel_hi:[1,0,0] neg_lo:[1,0,0] neg_hi:[1,0,0]
	v_pk_fma_f32 v[58:59], v[60:61], v[8:9], v[72:73] op_sel:[0,0,1] op_sel_hi:[1,1,0]
	v_pk_fma_f32 v[8:9], v[60:61], v[8:9], v[72:73] op_sel:[0,0,1] op_sel_hi:[1,0,0] neg_lo:[1,0,0] neg_hi:[1,0,0]
	v_pk_fma_f32 v[60:61], v[62:63], v[6:7], v[74:75] op_sel:[0,0,1] op_sel_hi:[1,1,0]
	v_pk_fma_f32 v[6:7], v[62:63], v[6:7], v[74:75] op_sel:[0,0,1] op_sel_hi:[1,0,0] neg_lo:[1,0,0] neg_hi:[1,0,0]
	v_pk_fma_f32 v[62:63], v[64:65], v[4:5], v[76:77] op_sel:[0,0,1] op_sel_hi:[1,1,0]
	v_pk_fma_f32 v[4:5], v[64:65], v[4:5], v[76:77] op_sel:[0,0,1] op_sel_hi:[1,0,0] neg_lo:[1,0,0] neg_hi:[1,0,0]
	v_mov_b32_e32 v79, v15
	v_mov_b32_e32 v63, v5
	;; [unrolled: 1-line block ×6, first 2 shown]
	v_pk_add_f32 v[14:15], v[32:33], v[62:63] neg_lo:[0,1] neg_hi:[0,1]
	v_pk_add_f32 v[4:5], v[46:47], v[78:79] neg_lo:[0,1] neg_hi:[0,1]
	;; [unrolled: 1-line block ×6, first 2 shown]
	v_pk_fma_f32 v[32:33], v[32:33], 2.0, v[14:15] op_sel_hi:[1,0,1] neg_lo:[0,0,1] neg_hi:[0,0,1]
	v_pk_fma_f32 v[46:47], v[46:47], 2.0, v[4:5] op_sel_hi:[1,0,1] neg_lo:[0,0,1] neg_hi:[0,0,1]
	;; [unrolled: 1-line block ×6, first 2 shown]
	ds_write2_b64 v105, v[32:33], v[14:15] offset1:13
	ds_write2_b64 v52, v[36:37], v[12:13] offset1:13
	;; [unrolled: 1-line block ×6, first 2 shown]
	s_and_saveexec_b64 s[10:11], s[0:1]
	s_cbranch_execz .LBB0_17
; %bb.16:
	v_lshlrev_b32_e32 v4, 3, v42
	global_load_dwordx2 v[4:5], v4, s[8:9]
	v_mov_b32_e32 v6, v3
	s_waitcnt vmcnt(0)
	v_pk_mul_f32 v[6:7], v[6:7], v[4:5] op_sel_hi:[0,1]
	v_pk_fma_f32 v[8:9], v[2:3], v[4:5], v[6:7] op_sel:[0,0,1] op_sel_hi:[1,1,0]
	v_pk_fma_f32 v[2:3], v[2:3], v[4:5], v[6:7] op_sel:[0,0,1] op_sel_hi:[0,1,0] neg_lo:[1,0,0] neg_hi:[1,0,0]
	v_mov_b32_e32 v9, v3
	v_pk_add_f32 v[2:3], v[0:1], v[8:9] neg_lo:[0,1] neg_hi:[0,1]
	s_nop 0
	v_pk_fma_f32 v[0:1], v[0:1], 2.0, v[2:3] op_sel_hi:[1,0,1] neg_lo:[0,0,1] neg_hi:[0,0,1]
	ds_write2_b64 v102, v[0:1], v[2:3] offset0:12 offset1:25
.LBB0_17:
	s_or_b64 exec, exec, s[10:11]
	s_waitcnt lgkmcnt(0)
	; wave barrier
	s_waitcnt lgkmcnt(0)
	ds_read_b64 v[4:5], v103
	v_sub_u32_e32 v6, v102, v104
                                        ; implicit-def: $vgpr2_vgpr3
                                        ; implicit-def: $vgpr1
	s_and_saveexec_b64 s[10:11], s[2:3]
	s_xor_b64 s[2:3], exec, s[10:11]
	s_cbranch_execz .LBB0_19
; %bb.18:
	global_load_dwordx2 v[2:3], v[34:35], off offset:104
	ds_read_b64 v[0:1], v6 offset:208
	v_mov_b32_e32 v9, 0.5
	v_mov_b32_e32 v10, v9
	s_waitcnt lgkmcnt(0)
	v_pk_add_f32 v[12:13], v[0:1], v[4:5]
	v_pk_add_f32 v[0:1], v[4:5], v[0:1] neg_lo:[0,1] neg_hi:[0,1]
	v_mov_b32_e32 v4, v13
	v_mov_b32_e32 v5, v0
	v_pk_mul_f32 v[4:5], v[4:5], 0.5 op_sel_hi:[1,0]
	s_waitcnt vmcnt(0)
	v_mov_b32_e32 v8, v3
	v_mov_b32_e32 v0, v5
	;; [unrolled: 1-line block ×4, first 2 shown]
	v_pk_mul_f32 v[0:1], v[8:9], v[0:1]
	v_pk_mul_f32 v[14:15], v[2:3], v[4:5] op_sel_hi:[0,1]
	v_pk_fma_f32 v[8:9], v[12:13], v[10:11], v[0:1]
	v_pk_fma_f32 v[10:11], v[12:13], v[10:11], v[0:1] neg_lo:[0,0,1] neg_hi:[0,0,1]
	v_add_f32_e32 v0, v14, v8
	v_sub_f32_e32 v1, v9, v15
	ds_write_b32 v103, v0
	v_pk_fma_f32 v[2:3], v[2:3], v[4:5], v[10:11] op_sel_hi:[0,1,1] neg_lo:[1,0,0] neg_hi:[1,0,0]
                                        ; implicit-def: $vgpr4_vgpr5
.LBB0_19:
	s_andn2_saveexec_b64 s[2:3], s[2:3]
	s_cbranch_execz .LBB0_21
; %bb.20:
	ds_read_b32 v2, v102 offset:108
	s_waitcnt lgkmcnt(1)
	v_mov_b32_e32 v0, v5
	v_add_f32_e32 v1, v5, v4
	ds_write_b32 v103, v1
	v_pk_add_f32 v[0:1], v[4:5], v[0:1] neg_lo:[0,1] neg_hi:[0,1]
	s_waitcnt lgkmcnt(1)
	v_xor_b32_e32 v1, 0x80000000, v2
	ds_write_b32 v102, v1 offset:108
	v_mov_b32_e32 v1, 0
	v_mov_b64_e32 v[2:3], v[0:1]
.LBB0_21:
	s_or_b64 exec, exec, s[2:3]
	s_waitcnt lgkmcnt(0)
	global_load_dwordx2 v[4:5], v[30:31], off offset:104
	global_load_dwordx2 v[8:9], v[28:29], off offset:104
	;; [unrolled: 1-line block ×4, first 2 shown]
	ds_write_b32 v103, v1 offset:4
	ds_write_b64 v6, v[2:3] offset:208
	ds_read_b64 v[0:1], v52
	ds_read_b64 v[2:3], v6 offset:192
	global_load_dwordx2 v[22:23], v[22:23], off offset:104
	v_mov_b32_e32 v15, 0.5
	v_mov_b32_e32 v24, v15
	s_waitcnt lgkmcnt(0)
	v_pk_add_f32 v[26:27], v[0:1], v[2:3]
	v_pk_add_f32 v[0:1], v[0:1], v[2:3] neg_lo:[0,1] neg_hi:[0,1]
	v_mov_b32_e32 v2, v27
	v_mov_b32_e32 v3, v0
	v_pk_mul_f32 v[2:3], v[2:3], 0.5 op_sel_hi:[1,0]
	s_waitcnt vmcnt(4)
	v_mov_b32_e32 v14, v5
	v_mov_b32_e32 v0, v3
	v_mov_b32_e32 v27, v2
	v_mov_b32_e32 v25, v5
	v_pk_mul_f32 v[0:1], v[14:15], v[0:1]
	s_waitcnt vmcnt(3)
	v_mov_b32_e32 v14, v9
	v_pk_fma_f32 v[28:29], v[26:27], v[24:25], v[0:1]
	v_pk_fma_f32 v[0:1], v[26:27], v[24:25], v[0:1] neg_lo:[0,0,1] neg_hi:[0,0,1]
	v_pk_fma_f32 v[24:25], v[4:5], v[2:3], v[28:29]
	v_pk_fma_f32 v[26:27], v[4:5], v[2:3], v[28:29] op_sel_hi:[0,1,1] neg_lo:[1,0,0] neg_hi:[1,0,0]
	v_mov_b32_e32 v25, v27
	v_pk_fma_f32 v[0:1], v[4:5], v[2:3], v[0:1] op_sel_hi:[0,1,1] neg_lo:[1,0,0] neg_hi:[1,0,0]
	ds_write_b64 v52, v[24:25]
	ds_write_b64 v6, v[0:1] offset:192
	ds_read_b64 v[0:1], v51
	ds_read_b64 v[2:3], v6 offset:176
	v_mov_b32_e32 v4, v15
	v_mov_b32_e32 v5, v9
	s_waitcnt lgkmcnt(0)
	v_pk_add_f32 v[24:25], v[0:1], v[2:3]
	v_pk_add_f32 v[0:1], v[0:1], v[2:3] neg_lo:[0,1] neg_hi:[0,1]
	v_mov_b32_e32 v2, v25
	v_mov_b32_e32 v3, v0
	v_pk_mul_f32 v[2:3], v[2:3], 0.5 op_sel_hi:[1,0]
	s_nop 0
	v_mov_b32_e32 v0, v3
	v_mov_b32_e32 v25, v2
	v_pk_mul_f32 v[0:1], v[14:15], v[0:1]
	s_waitcnt vmcnt(2)
	v_mov_b32_e32 v14, v11
	v_pk_fma_f32 v[26:27], v[24:25], v[4:5], v[0:1]
	v_pk_fma_f32 v[0:1], v[24:25], v[4:5], v[0:1] neg_lo:[0,0,1] neg_hi:[0,0,1]
	v_pk_fma_f32 v[4:5], v[8:9], v[2:3], v[26:27]
	v_pk_fma_f32 v[24:25], v[8:9], v[2:3], v[26:27] op_sel_hi:[0,1,1] neg_lo:[1,0,0] neg_hi:[1,0,0]
	v_mov_b32_e32 v5, v25
	v_pk_fma_f32 v[0:1], v[8:9], v[2:3], v[0:1] op_sel_hi:[0,1,1] neg_lo:[1,0,0] neg_hi:[1,0,0]
	ds_write_b64 v51, v[4:5]
	ds_write_b64 v6, v[0:1] offset:176
	ds_read_b64 v[0:1], v50
	ds_read_b64 v[2:3], v6 offset:160
	v_mov_b32_e32 v4, v15
	v_mov_b32_e32 v5, v11
	s_waitcnt lgkmcnt(0)
	v_pk_add_f32 v[8:9], v[0:1], v[2:3]
	v_pk_add_f32 v[0:1], v[0:1], v[2:3] neg_lo:[0,1] neg_hi:[0,1]
	v_mov_b32_e32 v2, v9
	v_mov_b32_e32 v3, v0
	v_pk_mul_f32 v[2:3], v[2:3], 0.5 op_sel_hi:[1,0]
	s_nop 0
	v_mov_b32_e32 v0, v3
	v_mov_b32_e32 v9, v2
	;; [unrolled: 24-line block ×4, first 2 shown]
	v_pk_mul_f32 v[0:1], v[14:15], v[0:1]
	s_nop 0
	v_pk_fma_f32 v[10:11], v[8:9], v[4:5], v[0:1]
	v_pk_fma_f32 v[0:1], v[8:9], v[4:5], v[0:1] neg_lo:[0,0,1] neg_hi:[0,0,1]
	v_pk_fma_f32 v[4:5], v[22:23], v[2:3], v[10:11]
	v_pk_fma_f32 v[8:9], v[22:23], v[2:3], v[10:11] op_sel_hi:[0,1,1] neg_lo:[1,0,0] neg_hi:[1,0,0]
	v_mov_b32_e32 v5, v9
	v_pk_fma_f32 v[0:1], v[22:23], v[2:3], v[0:1] op_sel_hi:[0,1,1] neg_lo:[1,0,0] neg_hi:[1,0,0]
	ds_write_b64 v48, v[4:5]
	ds_write_b64 v6, v[0:1] offset:128
	s_and_saveexec_b64 s[2:3], s[0:1]
	s_cbranch_execz .LBB0_23
; %bb.22:
	ds_read2_b64 v[0:3], v102 offset0:12 offset1:14
	s_load_dwordx2 s[0:1], s[8:9], 0xc8
	s_waitcnt lgkmcnt(0)
	v_pk_add_f32 v[4:5], v[0:1], v[2:3] neg_lo:[0,1] neg_hi:[0,1]
	v_pk_add_f32 v[0:1], v[0:1], v[2:3]
	v_mov_b32_e32 v2, v4
	v_mov_b32_e32 v3, v1
	v_pk_mul_f32 v[2:3], v[2:3], 0.5 op_sel_hi:[1,0]
	v_mov_b32_e32 v1, v5
	v_pk_mul_f32 v[6:7], s[0:1], v[2:3] op_sel:[1,0]
	v_pk_mul_f32 v[4:5], v[0:1], 0.5 op_sel_hi:[1,0]
	v_pk_fma_f32 v[0:1], v[0:1], 0.5, v[6:7] op_sel_hi:[1,0,1]
	v_pk_mul_f32 v[2:3], s[0:1], v[2:3] op_sel_hi:[0,1]
	v_pk_add_f32 v[8:9], v[0:1], v[2:3] op_sel:[0,1] op_sel_hi:[1,0]
	v_pk_add_f32 v[0:1], v[0:1], v[2:3] op_sel:[0,1] op_sel_hi:[1,0] neg_lo:[0,1] neg_hi:[0,1]
	s_nop 0
	v_mov_b32_e32 v9, v1
	v_mov_b32_e32 v0, v4
	;; [unrolled: 1-line block ×4, first 2 shown]
	v_pk_add_f32 v[0:1], v[0:1], v[6:7] neg_lo:[0,1] neg_hi:[0,1]
	s_nop 0
	v_pk_add_f32 v[0:1], v[0:1], v[2:3] op_sel:[0,1] op_sel_hi:[1,0] neg_lo:[0,1] neg_hi:[0,1]
	ds_write2_b64 v102, v[8:9], v[0:1] offset0:12 offset1:14
.LBB0_23:
	s_or_b64 exec, exec, s[2:3]
	s_waitcnt lgkmcnt(0)
	; wave barrier
	s_waitcnt lgkmcnt(0)
	s_and_saveexec_b64 s[0:1], vcc
	s_cbranch_execz .LBB0_26
; %bb.24:
	v_mul_lo_u32 v2, s5, v18
	v_mul_lo_u32 v3, s4, v19
	v_mad_u64_u32 v[0:1], s[0:1], s4, v18, 0
	v_add3_u32 v1, v1, v3, v2
	v_lshl_add_u32 v2, v20, 3, v102
	ds_read2_b64 v[4:7], v2 offset1:2
	v_lshl_add_u64 v[0:1], v[0:1], 3, s[6:7]
	v_mov_b32_e32 v21, 0
	v_lshl_add_u64 v[0:1], v[16:17], 3, v[0:1]
	v_lshl_add_u64 v[12:13], v[20:21], 3, v[0:1]
	ds_read2_b64 v[8:11], v2 offset0:4 offset1:6
	s_waitcnt lgkmcnt(1)
	global_store_dwordx2 v[12:13], v[4:5], off
	v_add_u32_e32 v4, 2, v20
	v_mov_b32_e32 v5, v21
	v_lshl_add_u64 v[4:5], v[4:5], 3, v[0:1]
	global_store_dwordx2 v[4:5], v[6:7], off
	v_add_u32_e32 v4, 4, v20
	v_mov_b32_e32 v5, v21
	v_lshl_add_u64 v[4:5], v[4:5], 3, v[0:1]
	s_waitcnt lgkmcnt(0)
	global_store_dwordx2 v[4:5], v[8:9], off
	v_add_u32_e32 v4, 6, v20
	v_mov_b32_e32 v5, v21
	v_lshl_add_u64 v[8:9], v[4:5], 3, v[0:1]
	ds_read2_b64 v[4:7], v2 offset0:8 offset1:10
	global_store_dwordx2 v[8:9], v[10:11], off
	v_add_u32_e32 v8, 8, v20
	v_mov_b32_e32 v9, v21
	v_lshl_add_u64 v[8:9], v[8:9], 3, v[0:1]
	s_waitcnt lgkmcnt(0)
	global_store_dwordx2 v[8:9], v[4:5], off
	ds_read2_b64 v[8:11], v2 offset0:12 offset1:14
	v_add_u32_e32 v4, 10, v20
	v_mov_b32_e32 v5, v21
	v_lshl_add_u64 v[4:5], v[4:5], 3, v[0:1]
	global_store_dwordx2 v[4:5], v[6:7], off
	v_add_u32_e32 v4, 12, v20
	v_mov_b32_e32 v5, v21
	v_lshl_add_u64 v[4:5], v[4:5], 3, v[0:1]
	s_waitcnt lgkmcnt(0)
	global_store_dwordx2 v[4:5], v[8:9], off
	v_add_u32_e32 v4, 14, v20
	v_mov_b32_e32 v5, v21
	v_lshl_add_u64 v[8:9], v[4:5], 3, v[0:1]
	ds_read2_b64 v[4:7], v2 offset0:16 offset1:18
	global_store_dwordx2 v[8:9], v[10:11], off
	v_add_u32_e32 v8, 16, v20
	v_mov_b32_e32 v9, v21
	v_lshl_add_u64 v[8:9], v[8:9], 3, v[0:1]
	s_waitcnt lgkmcnt(0)
	global_store_dwordx2 v[8:9], v[4:5], off
	v_add_u32_e32 v4, 18, v20
	v_mov_b32_e32 v5, v21
	ds_read2_b64 v[8:11], v2 offset0:20 offset1:22
	ds_read_b64 v[12:13], v2 offset:192
	v_lshl_add_u64 v[4:5], v[4:5], 3, v[0:1]
	global_store_dwordx2 v[4:5], v[6:7], off
	v_add_u32_e32 v4, 20, v20
	v_mov_b32_e32 v5, v21
	v_lshl_add_u64 v[4:5], v[4:5], 3, v[0:1]
	s_waitcnt lgkmcnt(1)
	global_store_dwordx2 v[4:5], v[8:9], off
	v_add_u32_e32 v4, 22, v20
	v_mov_b32_e32 v5, v21
	v_lshl_add_u64 v[4:5], v[4:5], 3, v[0:1]
	global_store_dwordx2 v[4:5], v[10:11], off
	v_add_u32_e32 v4, 24, v20
	v_mov_b32_e32 v5, v21
	v_lshl_add_u64 v[4:5], v[4:5], 3, v[0:1]
	v_cmp_eq_u32_e32 vcc, 1, v20
	s_waitcnt lgkmcnt(0)
	global_store_dwordx2 v[4:5], v[12:13], off
	s_and_b64 exec, exec, vcc
	s_cbranch_execz .LBB0_26
; %bb.25:
	ds_read_b64 v[2:3], v2 offset:200
	s_waitcnt lgkmcnt(0)
	global_store_dwordx2 v[0:1], v[2:3], off offset:208
.LBB0_26:
	s_endpgm
	.section	.rodata,"a",@progbits
	.p2align	6, 0x0
	.amdhsa_kernel fft_rtc_back_len26_factors_13_2_wgs_64_tpt_2_halfLds_sp_op_CI_CI_unitstride_sbrr_R2C_dirReg
		.amdhsa_group_segment_fixed_size 0
		.amdhsa_private_segment_fixed_size 0
		.amdhsa_kernarg_size 104
		.amdhsa_user_sgpr_count 2
		.amdhsa_user_sgpr_dispatch_ptr 0
		.amdhsa_user_sgpr_queue_ptr 0
		.amdhsa_user_sgpr_kernarg_segment_ptr 1
		.amdhsa_user_sgpr_dispatch_id 0
		.amdhsa_user_sgpr_kernarg_preload_length 0
		.amdhsa_user_sgpr_kernarg_preload_offset 0
		.amdhsa_user_sgpr_private_segment_size 0
		.amdhsa_uses_dynamic_stack 0
		.amdhsa_enable_private_segment 0
		.amdhsa_system_sgpr_workgroup_id_x 1
		.amdhsa_system_sgpr_workgroup_id_y 0
		.amdhsa_system_sgpr_workgroup_id_z 0
		.amdhsa_system_sgpr_workgroup_info 0
		.amdhsa_system_vgpr_workitem_id 0
		.amdhsa_next_free_vgpr 160
		.amdhsa_next_free_sgpr 38
		.amdhsa_accum_offset 160
		.amdhsa_reserve_vcc 1
		.amdhsa_float_round_mode_32 0
		.amdhsa_float_round_mode_16_64 0
		.amdhsa_float_denorm_mode_32 3
		.amdhsa_float_denorm_mode_16_64 3
		.amdhsa_dx10_clamp 1
		.amdhsa_ieee_mode 1
		.amdhsa_fp16_overflow 0
		.amdhsa_tg_split 0
		.amdhsa_exception_fp_ieee_invalid_op 0
		.amdhsa_exception_fp_denorm_src 0
		.amdhsa_exception_fp_ieee_div_zero 0
		.amdhsa_exception_fp_ieee_overflow 0
		.amdhsa_exception_fp_ieee_underflow 0
		.amdhsa_exception_fp_ieee_inexact 0
		.amdhsa_exception_int_div_zero 0
	.end_amdhsa_kernel
	.text
.Lfunc_end0:
	.size	fft_rtc_back_len26_factors_13_2_wgs_64_tpt_2_halfLds_sp_op_CI_CI_unitstride_sbrr_R2C_dirReg, .Lfunc_end0-fft_rtc_back_len26_factors_13_2_wgs_64_tpt_2_halfLds_sp_op_CI_CI_unitstride_sbrr_R2C_dirReg
                                        ; -- End function
	.section	.AMDGPU.csdata,"",@progbits
; Kernel info:
; codeLenInByte = 6532
; NumSgprs: 44
; NumVgprs: 160
; NumAgprs: 0
; TotalNumVgprs: 160
; ScratchSize: 0
; MemoryBound: 0
; FloatMode: 240
; IeeeMode: 1
; LDSByteSize: 0 bytes/workgroup (compile time only)
; SGPRBlocks: 5
; VGPRBlocks: 19
; NumSGPRsForWavesPerEU: 44
; NumVGPRsForWavesPerEU: 160
; AccumOffset: 160
; Occupancy: 3
; WaveLimiterHint : 1
; COMPUTE_PGM_RSRC2:SCRATCH_EN: 0
; COMPUTE_PGM_RSRC2:USER_SGPR: 2
; COMPUTE_PGM_RSRC2:TRAP_HANDLER: 0
; COMPUTE_PGM_RSRC2:TGID_X_EN: 1
; COMPUTE_PGM_RSRC2:TGID_Y_EN: 0
; COMPUTE_PGM_RSRC2:TGID_Z_EN: 0
; COMPUTE_PGM_RSRC2:TIDIG_COMP_CNT: 0
; COMPUTE_PGM_RSRC3_GFX90A:ACCUM_OFFSET: 39
; COMPUTE_PGM_RSRC3_GFX90A:TG_SPLIT: 0
	.text
	.p2alignl 6, 3212836864
	.fill 256, 4, 3212836864
	.type	__hip_cuid_adc6745f6fece574,@object ; @__hip_cuid_adc6745f6fece574
	.section	.bss,"aw",@nobits
	.globl	__hip_cuid_adc6745f6fece574
__hip_cuid_adc6745f6fece574:
	.byte	0                               ; 0x0
	.size	__hip_cuid_adc6745f6fece574, 1

	.ident	"AMD clang version 19.0.0git (https://github.com/RadeonOpenCompute/llvm-project roc-6.4.0 25133 c7fe45cf4b819c5991fe208aaa96edf142730f1d)"
	.section	".note.GNU-stack","",@progbits
	.addrsig
	.addrsig_sym __hip_cuid_adc6745f6fece574
	.amdgpu_metadata
---
amdhsa.kernels:
  - .agpr_count:     0
    .args:
      - .actual_access:  read_only
        .address_space:  global
        .offset:         0
        .size:           8
        .value_kind:     global_buffer
      - .offset:         8
        .size:           8
        .value_kind:     by_value
      - .actual_access:  read_only
        .address_space:  global
        .offset:         16
        .size:           8
        .value_kind:     global_buffer
      - .actual_access:  read_only
        .address_space:  global
        .offset:         24
        .size:           8
        .value_kind:     global_buffer
      - .actual_access:  read_only
        .address_space:  global
        .offset:         32
        .size:           8
        .value_kind:     global_buffer
      - .offset:         40
        .size:           8
        .value_kind:     by_value
      - .actual_access:  read_only
        .address_space:  global
        .offset:         48
        .size:           8
        .value_kind:     global_buffer
      - .actual_access:  read_only
        .address_space:  global
        .offset:         56
        .size:           8
        .value_kind:     global_buffer
      - .offset:         64
        .size:           4
        .value_kind:     by_value
      - .actual_access:  read_only
        .address_space:  global
        .offset:         72
        .size:           8
        .value_kind:     global_buffer
      - .actual_access:  read_only
        .address_space:  global
        .offset:         80
        .size:           8
        .value_kind:     global_buffer
      - .actual_access:  read_only
        .address_space:  global
        .offset:         88
        .size:           8
        .value_kind:     global_buffer
      - .actual_access:  write_only
        .address_space:  global
        .offset:         96
        .size:           8
        .value_kind:     global_buffer
    .group_segment_fixed_size: 0
    .kernarg_segment_align: 8
    .kernarg_segment_size: 104
    .language:       OpenCL C
    .language_version:
      - 2
      - 0
    .max_flat_workgroup_size: 64
    .name:           fft_rtc_back_len26_factors_13_2_wgs_64_tpt_2_halfLds_sp_op_CI_CI_unitstride_sbrr_R2C_dirReg
    .private_segment_fixed_size: 0
    .sgpr_count:     44
    .sgpr_spill_count: 0
    .symbol:         fft_rtc_back_len26_factors_13_2_wgs_64_tpt_2_halfLds_sp_op_CI_CI_unitstride_sbrr_R2C_dirReg.kd
    .uniform_work_group_size: 1
    .uses_dynamic_stack: false
    .vgpr_count:     160
    .vgpr_spill_count: 0
    .wavefront_size: 64
amdhsa.target:   amdgcn-amd-amdhsa--gfx950
amdhsa.version:
  - 1
  - 2
...

	.end_amdgpu_metadata
